;; amdgpu-corpus repo=ROCm/rocFFT kind=compiled arch=gfx906 opt=O3
	.text
	.amdgcn_target "amdgcn-amd-amdhsa--gfx906"
	.amdhsa_code_object_version 6
	.protected	fft_rtc_back_len1584_factors_4_2_2_11_3_3_wgs_176_tpt_176_halfLds_dp_op_CI_CI_unitstride_sbrr_dirReg ; -- Begin function fft_rtc_back_len1584_factors_4_2_2_11_3_3_wgs_176_tpt_176_halfLds_dp_op_CI_CI_unitstride_sbrr_dirReg
	.globl	fft_rtc_back_len1584_factors_4_2_2_11_3_3_wgs_176_tpt_176_halfLds_dp_op_CI_CI_unitstride_sbrr_dirReg
	.p2align	8
	.type	fft_rtc_back_len1584_factors_4_2_2_11_3_3_wgs_176_tpt_176_halfLds_dp_op_CI_CI_unitstride_sbrr_dirReg,@function
fft_rtc_back_len1584_factors_4_2_2_11_3_3_wgs_176_tpt_176_halfLds_dp_op_CI_CI_unitstride_sbrr_dirReg: ; @fft_rtc_back_len1584_factors_4_2_2_11_3_3_wgs_176_tpt_176_halfLds_dp_op_CI_CI_unitstride_sbrr_dirReg
; %bb.0:
	s_load_dwordx4 s[8:11], s[4:5], 0x58
	s_load_dwordx4 s[12:15], s[4:5], 0x0
	;; [unrolled: 1-line block ×3, first 2 shown]
	v_mul_u32_u24_e32 v1, 0x175, v0
	v_add_u32_sdwa v6, s6, v1 dst_sel:DWORD dst_unused:UNUSED_PAD src0_sel:DWORD src1_sel:WORD_1
	v_mov_b32_e32 v1, 0
	s_waitcnt lgkmcnt(0)
	v_cmp_lt_u64_e64 s[0:1], s[14:15], 2
	v_mov_b32_e32 v4, 0
	v_mov_b32_e32 v7, v1
	s_and_b64 vcc, exec, s[0:1]
	v_mov_b32_e32 v5, 0
	s_cbranch_vccnz .LBB0_8
; %bb.1:
	s_load_dwordx2 s[0:1], s[4:5], 0x10
	s_add_u32 s2, s18, 8
	s_addc_u32 s3, s19, 0
	s_add_u32 s6, s16, 8
	v_mov_b32_e32 v4, 0
	s_addc_u32 s7, s17, 0
	v_mov_b32_e32 v5, 0
	s_waitcnt lgkmcnt(0)
	s_add_u32 s20, s0, 8
	v_mov_b32_e32 v61, v5
	s_addc_u32 s21, s1, 0
	s_mov_b64 s[22:23], 1
	v_mov_b32_e32 v60, v4
.LBB0_2:                                ; =>This Inner Loop Header: Depth=1
	s_load_dwordx2 s[24:25], s[20:21], 0x0
                                        ; implicit-def: $vgpr62_vgpr63
	s_waitcnt lgkmcnt(0)
	v_or_b32_e32 v2, s25, v7
	v_cmp_ne_u64_e32 vcc, 0, v[1:2]
	s_and_saveexec_b64 s[0:1], vcc
	s_xor_b64 s[26:27], exec, s[0:1]
	s_cbranch_execz .LBB0_4
; %bb.3:                                ;   in Loop: Header=BB0_2 Depth=1
	v_cvt_f32_u32_e32 v2, s24
	v_cvt_f32_u32_e32 v3, s25
	s_sub_u32 s0, 0, s24
	s_subb_u32 s1, 0, s25
	v_mac_f32_e32 v2, 0x4f800000, v3
	v_rcp_f32_e32 v2, v2
	v_mul_f32_e32 v2, 0x5f7ffffc, v2
	v_mul_f32_e32 v3, 0x2f800000, v2
	v_trunc_f32_e32 v3, v3
	v_mac_f32_e32 v2, 0xcf800000, v3
	v_cvt_u32_f32_e32 v3, v3
	v_cvt_u32_f32_e32 v2, v2
	v_mul_lo_u32 v8, s0, v3
	v_mul_hi_u32 v9, s0, v2
	v_mul_lo_u32 v11, s1, v2
	v_mul_lo_u32 v10, s0, v2
	v_add_u32_e32 v8, v9, v8
	v_add_u32_e32 v8, v8, v11
	v_mul_hi_u32 v9, v2, v10
	v_mul_lo_u32 v11, v2, v8
	v_mul_hi_u32 v13, v2, v8
	v_mul_hi_u32 v12, v3, v10
	v_mul_lo_u32 v10, v3, v10
	v_mul_hi_u32 v14, v3, v8
	v_add_co_u32_e32 v9, vcc, v9, v11
	v_addc_co_u32_e32 v11, vcc, 0, v13, vcc
	v_mul_lo_u32 v8, v3, v8
	v_add_co_u32_e32 v9, vcc, v9, v10
	v_addc_co_u32_e32 v9, vcc, v11, v12, vcc
	v_addc_co_u32_e32 v10, vcc, 0, v14, vcc
	v_add_co_u32_e32 v8, vcc, v9, v8
	v_addc_co_u32_e32 v9, vcc, 0, v10, vcc
	v_add_co_u32_e32 v2, vcc, v2, v8
	v_addc_co_u32_e32 v3, vcc, v3, v9, vcc
	v_mul_lo_u32 v8, s0, v3
	v_mul_hi_u32 v9, s0, v2
	v_mul_lo_u32 v10, s1, v2
	v_mul_lo_u32 v11, s0, v2
	v_add_u32_e32 v8, v9, v8
	v_add_u32_e32 v8, v8, v10
	v_mul_lo_u32 v12, v2, v8
	v_mul_hi_u32 v13, v2, v11
	v_mul_hi_u32 v14, v2, v8
	v_mul_hi_u32 v10, v3, v11
	v_mul_lo_u32 v11, v3, v11
	v_mul_hi_u32 v9, v3, v8
	v_add_co_u32_e32 v12, vcc, v13, v12
	v_addc_co_u32_e32 v13, vcc, 0, v14, vcc
	v_mul_lo_u32 v8, v3, v8
	v_add_co_u32_e32 v11, vcc, v12, v11
	v_addc_co_u32_e32 v10, vcc, v13, v10, vcc
	v_addc_co_u32_e32 v9, vcc, 0, v9, vcc
	v_add_co_u32_e32 v8, vcc, v10, v8
	v_addc_co_u32_e32 v9, vcc, 0, v9, vcc
	v_add_co_u32_e32 v8, vcc, v2, v8
	v_addc_co_u32_e32 v9, vcc, v3, v9, vcc
	v_mad_u64_u32 v[2:3], s[0:1], v6, v9, 0
	v_mul_hi_u32 v10, v6, v8
	v_add_co_u32_e32 v10, vcc, v10, v2
	v_addc_co_u32_e32 v11, vcc, 0, v3, vcc
	v_mad_u64_u32 v[2:3], s[0:1], v7, v8, 0
	v_mad_u64_u32 v[8:9], s[0:1], v7, v9, 0
	v_add_co_u32_e32 v2, vcc, v10, v2
	v_addc_co_u32_e32 v2, vcc, v11, v3, vcc
	v_addc_co_u32_e32 v3, vcc, 0, v9, vcc
	v_add_co_u32_e32 v8, vcc, v2, v8
	v_addc_co_u32_e32 v9, vcc, 0, v3, vcc
	v_mul_lo_u32 v10, s25, v8
	v_mul_lo_u32 v11, s24, v9
	v_mad_u64_u32 v[2:3], s[0:1], s24, v8, 0
	v_add3_u32 v3, v3, v11, v10
	v_sub_u32_e32 v10, v7, v3
	v_mov_b32_e32 v11, s25
	v_sub_co_u32_e32 v2, vcc, v6, v2
	v_subb_co_u32_e64 v10, s[0:1], v10, v11, vcc
	v_subrev_co_u32_e64 v11, s[0:1], s24, v2
	v_subbrev_co_u32_e64 v10, s[0:1], 0, v10, s[0:1]
	v_cmp_le_u32_e64 s[0:1], s25, v10
	v_cndmask_b32_e64 v12, 0, -1, s[0:1]
	v_cmp_le_u32_e64 s[0:1], s24, v11
	v_cndmask_b32_e64 v11, 0, -1, s[0:1]
	v_cmp_eq_u32_e64 s[0:1], s25, v10
	v_cndmask_b32_e64 v10, v12, v11, s[0:1]
	v_add_co_u32_e64 v11, s[0:1], 2, v8
	v_addc_co_u32_e64 v12, s[0:1], 0, v9, s[0:1]
	v_add_co_u32_e64 v13, s[0:1], 1, v8
	v_addc_co_u32_e64 v14, s[0:1], 0, v9, s[0:1]
	v_subb_co_u32_e32 v3, vcc, v7, v3, vcc
	v_cmp_ne_u32_e64 s[0:1], 0, v10
	v_cmp_le_u32_e32 vcc, s25, v3
	v_cndmask_b32_e64 v10, v14, v12, s[0:1]
	v_cndmask_b32_e64 v12, 0, -1, vcc
	v_cmp_le_u32_e32 vcc, s24, v2
	v_cndmask_b32_e64 v2, 0, -1, vcc
	v_cmp_eq_u32_e32 vcc, s25, v3
	v_cndmask_b32_e32 v2, v12, v2, vcc
	v_cmp_ne_u32_e32 vcc, 0, v2
	v_cndmask_b32_e64 v2, v13, v11, s[0:1]
	v_cndmask_b32_e32 v63, v9, v10, vcc
	v_cndmask_b32_e32 v62, v8, v2, vcc
.LBB0_4:                                ;   in Loop: Header=BB0_2 Depth=1
	s_andn2_saveexec_b64 s[0:1], s[26:27]
	s_cbranch_execz .LBB0_6
; %bb.5:                                ;   in Loop: Header=BB0_2 Depth=1
	v_cvt_f32_u32_e32 v2, s24
	s_sub_i32 s26, 0, s24
	v_mov_b32_e32 v63, v1
	v_rcp_iflag_f32_e32 v2, v2
	v_mul_f32_e32 v2, 0x4f7ffffe, v2
	v_cvt_u32_f32_e32 v2, v2
	v_mul_lo_u32 v3, s26, v2
	v_mul_hi_u32 v3, v2, v3
	v_add_u32_e32 v2, v2, v3
	v_mul_hi_u32 v2, v6, v2
	v_mul_lo_u32 v3, v2, s24
	v_add_u32_e32 v8, 1, v2
	v_sub_u32_e32 v3, v6, v3
	v_subrev_u32_e32 v9, s24, v3
	v_cmp_le_u32_e32 vcc, s24, v3
	v_cndmask_b32_e32 v3, v3, v9, vcc
	v_cndmask_b32_e32 v2, v2, v8, vcc
	v_add_u32_e32 v8, 1, v2
	v_cmp_le_u32_e32 vcc, s24, v3
	v_cndmask_b32_e32 v62, v2, v8, vcc
.LBB0_6:                                ;   in Loop: Header=BB0_2 Depth=1
	s_or_b64 exec, exec, s[0:1]
	v_mul_lo_u32 v8, v63, s24
	v_mul_lo_u32 v9, v62, s25
	v_mad_u64_u32 v[2:3], s[0:1], v62, s24, 0
	s_load_dwordx2 s[0:1], s[6:7], 0x0
	s_load_dwordx2 s[24:25], s[2:3], 0x0
	v_add3_u32 v3, v3, v9, v8
	v_sub_co_u32_e32 v2, vcc, v6, v2
	v_subb_co_u32_e32 v3, vcc, v7, v3, vcc
	s_waitcnt lgkmcnt(0)
	v_mul_lo_u32 v6, s0, v3
	v_mul_lo_u32 v7, s1, v2
	v_mad_u64_u32 v[4:5], s[0:1], s0, v2, v[4:5]
	v_mul_lo_u32 v3, s24, v3
	v_mul_lo_u32 v8, s25, v2
	v_mad_u64_u32 v[60:61], s[0:1], s24, v2, v[60:61]
	s_add_u32 s22, s22, 1
	s_addc_u32 s23, s23, 0
	s_add_u32 s2, s2, 8
	v_add3_u32 v61, v8, v61, v3
	s_addc_u32 s3, s3, 0
	v_mov_b32_e32 v2, s14
	s_add_u32 s6, s6, 8
	v_mov_b32_e32 v3, s15
	s_addc_u32 s7, s7, 0
	v_cmp_ge_u64_e32 vcc, s[22:23], v[2:3]
	s_add_u32 s20, s20, 8
	v_add3_u32 v5, v7, v5, v6
	s_addc_u32 s21, s21, 0
	s_cbranch_vccnz .LBB0_9
; %bb.7:                                ;   in Loop: Header=BB0_2 Depth=1
	v_mov_b32_e32 v6, v62
	v_mov_b32_e32 v7, v63
	s_branch .LBB0_2
.LBB0_8:
	v_mov_b32_e32 v61, v5
	v_mov_b32_e32 v63, v7
	;; [unrolled: 1-line block ×4, first 2 shown]
.LBB0_9:
	s_load_dwordx2 s[2:3], s[4:5], 0x28
	s_lshl_b64 s[6:7], s[14:15], 3
	s_add_u32 s4, s18, s6
	s_addc_u32 s5, s19, s7
                                        ; implicit-def: $vgpr76
	s_waitcnt lgkmcnt(0)
	v_cmp_gt_u64_e64 s[0:1], s[2:3], v[62:63]
	v_cmp_le_u64_e32 vcc, s[2:3], v[62:63]
	s_and_saveexec_b64 s[2:3], vcc
	s_xor_b64 s[2:3], exec, s[2:3]
; %bb.10:
	s_mov_b32 s14, 0x1745d18
	v_mul_hi_u32 v1, v0, s14
                                        ; implicit-def: $vgpr4_vgpr5
	v_mul_u32_u24_e32 v1, 0xb0, v1
	v_sub_u32_e32 v76, v0, v1
                                        ; implicit-def: $vgpr0
; %bb.11:
	s_or_saveexec_b64 s[2:3], s[2:3]
	s_load_dwordx2 s[4:5], s[4:5], 0x0
                                        ; implicit-def: $vgpr2_vgpr3
                                        ; implicit-def: $vgpr6_vgpr7
                                        ; implicit-def: $vgpr12_vgpr13
                                        ; implicit-def: $vgpr24_vgpr25
                                        ; implicit-def: $vgpr36_vgpr37
                                        ; implicit-def: $vgpr32_vgpr33
                                        ; implicit-def: $vgpr44_vgpr45
                                        ; implicit-def: $vgpr28_vgpr29
                                        ; implicit-def: $vgpr40_vgpr41
                                        ; implicit-def: $vgpr16_vgpr17
                                        ; implicit-def: $vgpr48_vgpr49
                                        ; implicit-def: $vgpr20_vgpr21
	s_xor_b64 exec, exec, s[2:3]
	s_cbranch_execz .LBB0_15
; %bb.12:
	s_add_u32 s6, s16, s6
	s_addc_u32 s7, s17, s7
	s_load_dwordx2 s[6:7], s[6:7], 0x0
	s_mov_b32 s14, 0x1745d18
	v_mul_hi_u32 v3, v0, s14
                                        ; implicit-def: $vgpr42_vgpr43
                                        ; implicit-def: $vgpr34_vgpr35
	s_waitcnt lgkmcnt(0)
	v_mul_lo_u32 v6, s7, v62
	v_mul_lo_u32 v7, s6, v63
	v_mad_u64_u32 v[1:2], s[6:7], s6, v62, 0
	v_mul_u32_u24_e32 v3, 0xb0, v3
	v_sub_u32_e32 v76, v0, v3
	v_add3_u32 v2, v2, v7, v6
	v_lshlrev_b64 v[0:1], 4, v[1:2]
	v_mov_b32_e32 v2, s9
	v_add_co_u32_e32 v3, vcc, s8, v0
	v_addc_co_u32_e32 v2, vcc, v2, v1, vcc
	v_lshlrev_b64 v[0:1], 4, v[4:5]
	s_movk_i32 s6, 0x1000
	v_add_co_u32_e32 v0, vcc, v3, v0
	v_addc_co_u32_e32 v1, vcc, v2, v1, vcc
	v_lshlrev_b32_e32 v2, 4, v76
	v_add_co_u32_e32 v8, vcc, v0, v2
	v_addc_co_u32_e32 v9, vcc, 0, v1, vcc
	v_add_co_u32_e32 v10, vcc, s6, v8
	v_addc_co_u32_e32 v11, vcc, 0, v9, vcc
	s_movk_i32 s6, 0x3000
	v_add_co_u32_e32 v26, vcc, s6, v8
	v_addc_co_u32_e32 v27, vcc, 0, v9, vcc
	s_movk_i32 s6, 0x4000
	;; [unrolled: 3-line block ×3, first 2 shown]
	v_add_co_u32_e32 v28, vcc, s6, v8
	v_addc_co_u32_e32 v29, vcc, 0, v9, vcc
	v_add_co_u32_e32 v30, vcc, 0x5000, v8
	global_load_dwordx4 v[0:3], v[10:11], off offset:2240
	global_load_dwordx4 v[4:7], v[26:27], off offset:384
	v_addc_co_u32_e32 v31, vcc, 0, v9, vcc
	global_load_dwordx4 v[10:13], v[28:29], off offset:960
	global_load_dwordx4 v[38:41], v[30:31], off offset:1344
	global_load_dwordx4 v[22:25], v[26:27], off offset:3200
	global_load_dwordx4 v[46:49], v[36:37], off offset:2624
	global_load_dwordx4 v[18:21], v[8:9], off
	global_load_dwordx4 v[14:17], v[8:9], off offset:2816
	v_cmp_gt_u32_e32 vcc, 44, v76
                                        ; implicit-def: $vgpr26_vgpr27
                                        ; implicit-def: $vgpr30_vgpr31
	s_and_saveexec_b64 s[6:7], vcc
	s_cbranch_execz .LBB0_14
; %bb.13:
	v_add_co_u32_e32 v34, vcc, 0x1000, v8
	v_addc_co_u32_e32 v35, vcc, 0, v9, vcc
	v_add_co_u32_e32 v50, vcc, 0x2000, v8
	v_addc_co_u32_e32 v51, vcc, 0, v9, vcc
	v_add_co_u32_e32 v8, vcc, 0x6000, v8
	global_load_dwordx4 v[26:29], v[34:35], off offset:1536
	global_load_dwordx4 v[30:33], v[36:37], off offset:1920
	v_addc_co_u32_e32 v9, vcc, 0, v9, vcc
	global_load_dwordx4 v[34:37], v[50:51], off offset:3776
	global_load_dwordx4 v[42:45], v[8:9], off offset:64
.LBB0_14:
	s_or_b64 exec, exec, s[6:7]
.LBB0_15:
	s_or_b64 exec, exec, s[2:3]
	s_waitcnt vmcnt(1)
	v_add_f64 v[50:51], v[18:19], -v[4:5]
	v_add_f64 v[4:5], v[0:1], -v[46:47]
	s_waitcnt vmcnt(0)
	v_add_f64 v[54:55], v[14:15], -v[22:23]
	v_add_f64 v[22:23], v[10:11], -v[38:39]
	;; [unrolled: 1-line block ×5, first 2 shown]
	v_add_u32_e32 v65, 0xb0, v76
	v_fma_f64 v[18:19], v[18:19], 2.0, -v[50:51]
	v_fma_f64 v[8:9], v[0:1], 2.0, -v[4:5]
	v_add_f64 v[0:1], v[12:13], -v[40:41]
	v_fma_f64 v[40:41], v[14:15], 2.0, -v[54:55]
	v_fma_f64 v[10:11], v[10:11], 2.0, -v[22:23]
	v_fma_f64 v[66:67], v[26:27], 2.0, -v[38:39]
	v_add_f64 v[14:15], v[36:37], -v[44:45]
	v_fma_f64 v[34:35], v[34:35], 2.0, -v[30:31]
	v_add_f64 v[44:45], v[58:59], v[50:51]
	v_add_f64 v[42:43], v[18:19], -v[8:9]
	v_add_f64 v[48:49], v[0:1], v[54:55]
	v_add_u32_e32 v78, 0x160, v76
	v_add_f64 v[46:47], v[40:41], -v[10:11]
	v_lshl_add_u32 v26, v76, 5, 0
	v_add_f64 v[10:11], v[14:15], v[38:39]
	v_add_f64 v[8:9], v[66:67], -v[34:35]
	v_fma_f64 v[52:53], v[50:51], 2.0, -v[44:45]
	v_fma_f64 v[50:51], v[18:19], 2.0, -v[42:43]
	;; [unrolled: 1-line block ×3, first 2 shown]
	v_lshl_add_u32 v19, v65, 5, 0
	v_fma_f64 v[54:55], v[40:41], 2.0, -v[46:47]
	v_cmp_gt_u32_e32 vcc, 44, v76
	v_fma_f64 v[40:41], v[38:39], 2.0, -v[10:11]
	v_fma_f64 v[38:39], v[66:67], 2.0, -v[8:9]
	v_lshl_add_u32 v18, v78, 5, 0
	ds_write_b128 v26, v[42:45] offset:16
	ds_write_b128 v19, v[46:49] offset:16
	ds_write_b128 v26, v[50:53]
	ds_write_b128 v19, v[54:57]
	s_and_saveexec_b64 s[2:3], vcc
	s_cbranch_execz .LBB0_17
; %bb.16:
	ds_write_b128 v18, v[38:41]
	ds_write_b128 v18, v[8:11] offset:16
.LBB0_17:
	s_or_b64 exec, exec, s[2:3]
	s_movk_i32 s2, 0xffe8
	v_mad_i32_i24 v77, v76, s2, v26
	v_add_u32_e32 v10, 0x1800, v77
	s_waitcnt lgkmcnt(0)
	s_barrier
	ds_read2_b64 v[42:45], v10 offset0:24 offset1:200
	v_add_u32_e32 v10, 0xa00, v77
	ds_read2_b64 v[54:57], v10 offset0:32 offset1:208
	v_add_u32_e32 v10, 0x2200, v77
	ds_read2_b64 v[50:53], v77 offset1:176
	ds_read2_b64 v[46:49], v10 offset0:56 offset1:232
	s_movk_i32 s2, 0x58
	v_cmp_gt_u32_e64 s[2:3], s2, v76
	s_and_saveexec_b64 s[6:7], s[2:3]
	s_cbranch_execz .LBB0_19
; %bb.18:
	ds_read_b64 v[38:39], v77 offset:5632
	ds_read_b64 v[40:41], v77 offset:11968
.LBB0_19:
	s_or_b64 exec, exec, s[6:7]
	v_add_f64 v[6:7], v[20:21], -v[6:7]
	v_add_f64 v[24:25], v[16:17], -v[24:25]
	;; [unrolled: 1-line block ×3, first 2 shown]
	v_fma_f64 v[10:11], v[2:3], 2.0, -v[58:59]
	v_fma_f64 v[12:13], v[12:13], 2.0, -v[0:1]
	;; [unrolled: 1-line block ×3, first 2 shown]
	s_waitcnt lgkmcnt(0)
	s_barrier
	v_fma_f64 v[20:21], v[20:21], 2.0, -v[6:7]
	v_fma_f64 v[34:35], v[16:17], 2.0, -v[24:25]
	;; [unrolled: 1-line block ×3, first 2 shown]
	v_add_f64 v[2:3], v[6:7], -v[4:5]
	v_add_f64 v[16:17], v[24:25], -v[22:23]
	;; [unrolled: 1-line block ×6, first 2 shown]
	v_fma_f64 v[22:23], v[6:7], 2.0, -v[2:3]
	v_fma_f64 v[29:30], v[24:25], 2.0, -v[16:17]
	;; [unrolled: 1-line block ×6, first 2 shown]
	ds_write_b128 v26, v[0:3] offset:16
	ds_write_b128 v26, v[20:23]
	ds_write_b128 v19, v[27:30]
	ds_write_b128 v19, v[14:17] offset:16
	s_and_saveexec_b64 s[6:7], vcc
	s_cbranch_execz .LBB0_21
; %bb.20:
	ds_write_b128 v18, v[4:7]
	ds_write_b128 v18, v[10:13] offset:16
.LBB0_21:
	s_or_b64 exec, exec, s[6:7]
	v_add_u32_e32 v0, 0x1800, v77
	s_waitcnt lgkmcnt(0)
	s_barrier
	ds_read2_b64 v[20:23], v0 offset0:24 offset1:200
	v_add_u32_e32 v0, 0xa00, v77
	ds_read2_b64 v[16:19], v0 offset0:32 offset1:208
	v_add_u32_e32 v0, 0x2200, v77
	ds_read2_b64 v[12:15], v77 offset1:176
	ds_read2_b64 v[24:27], v0 offset0:56 offset1:232
	s_and_saveexec_b64 s[6:7], s[2:3]
	s_cbranch_execz .LBB0_23
; %bb.22:
	ds_read_b64 v[4:5], v77 offset:5632
	ds_read_b64 v[6:7], v77 offset:11968
.LBB0_23:
	s_or_b64 exec, exec, s[6:7]
	v_and_b32_e32 v36, 3, v76
	v_lshlrev_b32_e32 v0, 4, v36
	global_load_dwordx4 v[32:35], v0, s[12:13]
	v_lshlrev_b32_e32 v64, 1, v76
	s_movk_i32 s6, 0x1f8
	v_lshlrev_b32_e32 v66, 1, v65
	s_movk_i32 s7, 0x3f8
	;; [unrolled: 2-line block ×3, first 2 shown]
	v_add_u32_e32 v80, 0x420, v64
	v_add_u32_e32 v70, 0x2c0, v76
	v_and_or_b32 v37, v64, s6, v36
	v_and_or_b32 v65, v66, s7, v36
	;; [unrolled: 1-line block ×3, first 2 shown]
	v_lshl_add_u32 v37, v37, 3, 0
	v_lshl_add_u32 v79, v65, 3, 0
	v_lshlrev_b32_e32 v65, 1, v70
	s_waitcnt vmcnt(0) lgkmcnt(0)
	s_barrier
	v_mul_f64 v[0:1], v[20:21], v[34:35]
	v_mul_f64 v[58:59], v[6:7], v[34:35]
	;; [unrolled: 1-line block ×5, first 2 shown]
	v_fma_f64 v[0:1], v[42:43], v[32:33], v[0:1]
	v_fma_f64 v[58:59], v[40:41], v[32:33], v[58:59]
	;; [unrolled: 1-line block ×5, first 2 shown]
	v_add_f64 v[0:1], v[50:51], -v[0:1]
	v_add_f64 v[68:69], v[38:39], -v[58:59]
	;; [unrolled: 1-line block ×5, first 2 shown]
	v_fma_f64 v[58:59], v[50:51], 2.0, -v[0:1]
	v_fma_f64 v[74:75], v[38:39], 2.0, -v[68:69]
	;; [unrolled: 1-line block ×5, first 2 shown]
	v_and_or_b32 v38, v80, s8, v36
	v_lshl_add_u32 v50, v71, 3, 0
	v_lshl_add_u32 v38, v38, 3, 0
	ds_write2_b64 v37, v[58:59], v[0:1] offset1:4
	ds_write2_b64 v79, v[51:52], v[2:3] offset1:4
	;; [unrolled: 1-line block ×4, first 2 shown]
	s_and_saveexec_b64 s[6:7], s[2:3]
	s_cbranch_execz .LBB0_25
; %bb.24:
	v_and_or_b32 v0, v65, s8, v36
	v_lshl_add_u32 v0, v0, 3, 0
	ds_write2_b64 v0, v[74:75], v[68:69] offset1:4
.LBB0_25:
	s_or_b64 exec, exec, s[6:7]
	v_add_u32_e32 v28, 0xa00, v77
	s_waitcnt lgkmcnt(0)
	s_barrier
	v_add_u32_e32 v0, 0x1800, v77
	ds_read2_b64 v[56:59], v28 offset0:32 offset1:208
	v_add_u32_e32 v28, 0x2200, v77
	ds_read2_b64 v[52:55], v77 offset1:176
	ds_read2_b64 v[0:3], v0 offset0:24 offset1:200
	ds_read2_b64 v[28:31], v28 offset0:56 offset1:232
	s_and_saveexec_b64 s[6:7], s[2:3]
	s_cbranch_execz .LBB0_27
; %bb.26:
	ds_read_b64 v[74:75], v77 offset:5632
	ds_read_b64 v[68:69], v77 offset:11968
.LBB0_27:
	s_or_b64 exec, exec, s[6:7]
	v_mul_f64 v[42:43], v[42:43], v[34:35]
	v_mul_f64 v[44:45], v[44:45], v[34:35]
	;; [unrolled: 1-line block ×5, first 2 shown]
	s_waitcnt lgkmcnt(0)
	s_barrier
	v_fma_f64 v[20:21], v[20:21], v[32:33], -v[42:43]
	v_fma_f64 v[22:23], v[22:23], v[32:33], -v[44:45]
	;; [unrolled: 1-line block ×5, first 2 shown]
	v_add_f64 v[20:21], v[12:13], -v[20:21]
	v_add_f64 v[22:23], v[14:15], -v[22:23]
	;; [unrolled: 1-line block ×5, first 2 shown]
	v_fma_f64 v[6:7], v[12:13], 2.0, -v[20:21]
	v_fma_f64 v[12:13], v[14:15], 2.0, -v[22:23]
	;; [unrolled: 1-line block ×5, first 2 shown]
	ds_write2_b64 v37, v[6:7], v[20:21] offset1:4
	ds_write2_b64 v79, v[12:13], v[22:23] offset1:4
	;; [unrolled: 1-line block ×4, first 2 shown]
	s_and_saveexec_b64 s[6:7], s[2:3]
	s_cbranch_execz .LBB0_29
; %bb.28:
	v_and_or_b32 v4, v65, s8, v36
	v_lshl_add_u32 v4, v4, 3, 0
	ds_write2_b64 v4, v[70:71], v[72:73] offset1:4
.LBB0_29:
	s_or_b64 exec, exec, s[6:7]
	v_add_u32_e32 v4, 0x1800, v77
	s_waitcnt lgkmcnt(0)
	s_barrier
	ds_read2_b64 v[32:35], v4 offset0:24 offset1:200
	v_add_u32_e32 v4, 0xa00, v77
	ds_read2_b64 v[48:51], v4 offset0:32 offset1:208
	v_add_u32_e32 v4, 0x2200, v77
	ds_read2_b64 v[44:47], v77 offset1:176
	ds_read2_b64 v[36:39], v4 offset0:56 offset1:232
	s_and_saveexec_b64 s[6:7], s[2:3]
	s_cbranch_execz .LBB0_31
; %bb.30:
	ds_read_b64 v[70:71], v77 offset:5632
	ds_read_b64 v[72:73], v77 offset:11968
.LBB0_31:
	s_or_b64 exec, exec, s[6:7]
	v_and_b32_e32 v79, 7, v76
	v_lshlrev_b32_e32 v4, 4, v79
	global_load_dwordx4 v[40:43], v4, s[12:13] offset:64
	s_movk_i32 s6, 0x1f0
	s_movk_i32 s8, 0x7f0
	v_and_or_b32 v24, v64, s6, v79
	v_and_or_b32 v83, v80, s8, v79
	v_lshl_add_u32 v80, v24, 3, 0
	s_movk_i32 s7, 0x3f0
	v_and_or_b32 v81, v66, s7, v79
	v_and_or_b32 v82, v67, s8, v79
	s_waitcnt vmcnt(0) lgkmcnt(0)
	s_barrier
	v_mul_f64 v[4:5], v[32:33], v[42:43]
	v_mul_f64 v[6:7], v[34:35], v[42:43]
	;; [unrolled: 1-line block ×5, first 2 shown]
	v_fma_f64 v[4:5], v[0:1], v[40:41], v[4:5]
	v_fma_f64 v[18:19], v[2:3], v[40:41], v[6:7]
	;; [unrolled: 1-line block ×5, first 2 shown]
	v_add_f64 v[6:7], v[52:53], -v[4:5]
	v_add_f64 v[14:15], v[54:55], -v[18:19]
	;; [unrolled: 1-line block ×5, first 2 shown]
	v_fma_f64 v[4:5], v[52:53], 2.0, -v[6:7]
	v_fma_f64 v[12:13], v[54:55], 2.0, -v[14:15]
	;; [unrolled: 1-line block ×5, first 2 shown]
	v_lshl_add_u32 v52, v81, 3, 0
	v_lshl_add_u32 v53, v82, 3, 0
	;; [unrolled: 1-line block ×3, first 2 shown]
	ds_write2_b64 v80, v[4:5], v[6:7] offset1:8
	ds_write2_b64 v52, v[12:13], v[14:15] offset1:8
	;; [unrolled: 1-line block ×4, first 2 shown]
	s_and_saveexec_b64 s[6:7], s[2:3]
	s_cbranch_execz .LBB0_33
; %bb.32:
	v_and_or_b32 v55, v65, s8, v79
	v_lshl_add_u32 v55, v55, 3, 0
	ds_write2_b64 v55, v[24:25], v[26:27] offset1:8
.LBB0_33:
	s_or_b64 exec, exec, s[6:7]
	s_movk_i32 s6, 0x90
	v_cmp_gt_u32_e32 vcc, s6, v76
	s_waitcnt lgkmcnt(0)
	s_barrier
	s_and_saveexec_b64 s[6:7], vcc
	s_cbranch_execz .LBB0_35
; %bb.34:
	v_add_u32_e32 v8, 0x800, v77
	ds_read2_b64 v[12:15], v8 offset0:32 offset1:176
	v_add_u32_e32 v8, 0x1000, v77
	ds_read2_b64 v[16:19], v8 offset0:64 offset1:208
	;; [unrolled: 2-line block ×3, first 2 shown]
	v_add_u32_e32 v8, 0x2400, v77
	ds_read2_b64 v[4:7], v77 offset1:144
	ds_read2_b64 v[24:27], v8 offset1:144
	ds_read_b64 v[8:9], v77 offset:11520
.LBB0_35:
	s_or_b64 exec, exec, s[6:7]
	v_mul_f64 v[0:1], v[0:1], v[42:43]
	v_mul_f64 v[2:3], v[2:3], v[42:43]
	;; [unrolled: 1-line block ×5, first 2 shown]
	s_waitcnt lgkmcnt(0)
	s_barrier
	v_fma_f64 v[0:1], v[32:33], v[40:41], -v[0:1]
	v_fma_f64 v[32:33], v[34:35], v[40:41], -v[2:3]
	;; [unrolled: 1-line block ×5, first 2 shown]
	v_add_f64 v[2:3], v[44:45], -v[0:1]
	v_add_f64 v[30:31], v[46:47], -v[32:33]
	;; [unrolled: 1-line block ×5, first 2 shown]
	v_fma_f64 v[0:1], v[44:45], 2.0, -v[2:3]
	v_fma_f64 v[28:29], v[46:47], 2.0, -v[30:31]
	;; [unrolled: 1-line block ×5, first 2 shown]
	ds_write2_b64 v80, v[0:1], v[2:3] offset1:8
	ds_write2_b64 v52, v[28:29], v[30:31] offset1:8
	;; [unrolled: 1-line block ×4, first 2 shown]
	s_and_saveexec_b64 s[6:7], s[2:3]
	s_cbranch_execz .LBB0_37
; %bb.36:
	s_movk_i32 s2, 0x7f0
	v_and_or_b32 v44, v65, s2, v79
	v_lshl_add_u32 v44, v44, 3, 0
	ds_write2_b64 v44, v[40:41], v[42:43] offset1:8
.LBB0_37:
	s_or_b64 exec, exec, s[6:7]
	s_waitcnt lgkmcnt(0)
	s_barrier
	s_and_saveexec_b64 s[2:3], vcc
	s_cbranch_execz .LBB0_39
; %bb.38:
	v_add_u32_e32 v10, 0x800, v77
	ds_read2_b64 v[28:31], v10 offset0:32 offset1:176
	v_add_u32_e32 v10, 0x1000, v77
	ds_read2_b64 v[32:35], v10 offset0:64 offset1:208
	;; [unrolled: 2-line block ×3, first 2 shown]
	v_add_u32_e32 v10, 0x2400, v77
	ds_read2_b64 v[0:3], v77 offset1:144
	ds_read2_b64 v[40:43], v10 offset1:144
	ds_read_b64 v[10:11], v77 offset:11520
.LBB0_39:
	s_or_b64 exec, exec, s[2:3]
	v_and_b32_e32 v65, 15, v76
	v_mul_u32_u24_e32 v44, 10, v65
	v_lshlrev_b32_e32 v52, 4, v44
	global_load_dwordx4 v[44:47], v52, s[12:13] offset:192
	global_load_dwordx4 v[48:51], v52, s[12:13] offset:208
	global_load_dwordx4 v[68:71], v52, s[12:13] offset:224
	global_load_dwordx4 v[72:75], v52, s[12:13] offset:240
	global_load_dwordx4 v[79:82], v52, s[12:13] offset:256
	global_load_dwordx4 v[83:86], v52, s[12:13] offset:272
	global_load_dwordx4 v[87:90], v52, s[12:13] offset:288
	global_load_dwordx4 v[91:94], v52, s[12:13] offset:304
	global_load_dwordx4 v[95:98], v52, s[12:13] offset:320
	global_load_dwordx4 v[99:102], v52, s[12:13] offset:336
	s_waitcnt vmcnt(0) lgkmcnt(0)
	s_barrier
	v_mul_f64 v[52:53], v[2:3], v[46:47]
	v_mul_f64 v[46:47], v[6:7], v[46:47]
	v_mul_f64 v[58:59], v[28:29], v[50:51]
	v_mul_f64 v[103:104], v[12:13], v[50:51]
	v_mul_f64 v[105:106], v[30:31], v[70:71]
	v_mul_f64 v[70:71], v[14:15], v[70:71]
	v_mul_f64 v[107:108], v[32:33], v[74:75]
	v_mul_f64 v[74:75], v[16:17], v[74:75]
	v_mul_f64 v[109:110], v[34:35], v[81:82]
	v_mul_f64 v[81:82], v[18:19], v[81:82]
	v_mul_f64 v[111:112], v[36:37], v[85:86]
	v_mul_f64 v[85:86], v[20:21], v[85:86]
	v_mul_f64 v[113:114], v[38:39], v[89:90]
	v_mul_f64 v[89:90], v[22:23], v[89:90]
	v_mul_f64 v[115:116], v[40:41], v[93:94]
	v_mul_f64 v[93:94], v[24:25], v[93:94]
	v_mul_f64 v[117:118], v[42:43], v[97:98]
	v_fma_f64 v[54:55], v[6:7], v[44:45], v[52:53]
	v_fma_f64 v[56:57], v[2:3], v[44:45], -v[46:47]
	v_mul_f64 v[2:3], v[26:27], v[97:98]
	v_mul_f64 v[6:7], v[10:11], v[101:102]
	v_fma_f64 v[50:51], v[12:13], v[48:49], v[58:59]
	v_mul_f64 v[12:13], v[8:9], v[101:102]
	v_fma_f64 v[52:53], v[28:29], v[48:49], -v[103:104]
	v_fma_f64 v[46:47], v[14:15], v[68:69], v[105:106]
	v_fma_f64 v[48:49], v[30:31], v[68:69], -v[70:71]
	v_fma_f64 v[44:45], v[16:17], v[72:73], v[107:108]
	;; [unrolled: 2-line block ×8, first 2 shown]
	v_fma_f64 v[26:27], v[10:11], v[99:100], -v[12:13]
	v_lshrrev_b32_e32 v68, 4, v76
	s_and_saveexec_b64 s[2:3], vcc
	s_cbranch_execz .LBB0_41
; %bb.40:
	v_add_f64 v[2:3], v[56:57], -v[26:27]
	s_mov_b32 s8, 0xfd768dbf
	s_mov_b32 s9, 0xbfd207e7
	v_add_f64 v[10:11], v[52:53], -v[38:39]
	v_add_f64 v[12:13], v[54:55], v[42:43]
	s_mov_b32 s14, 0xf8bb580b
	s_mov_b32 s6, 0x9bcd5057
	s_mov_b32 s15, 0x3fe14ced
	v_mul_f64 v[14:15], v[2:3], s[8:9]
	s_mov_b32 s7, 0xbfeeb42a
	v_add_f64 v[16:17], v[48:49], -v[36:37]
	v_add_f64 v[58:59], v[50:51], v[40:41]
	v_mul_f64 v[69:70], v[10:11], s[14:15]
	s_mov_b32 s18, 0xbb3a28a1
	s_mov_b32 s16, 0x8764f0ba
	;; [unrolled: 1-line block ×3, first 2 shown]
	v_fma_f64 v[71:72], v[12:13], s[6:7], -v[14:15]
	s_mov_b32 s17, 0x3feaeb8c
	v_add_f64 v[8:9], v[46:47], v[24:25]
	v_fma_f64 v[14:15], v[12:13], s[6:7], v[14:15]
	v_add_f64 v[73:74], v[32:33], -v[34:35]
	v_mul_f64 v[79:80], v[16:17], s[18:19]
	v_fma_f64 v[81:82], v[58:59], s[16:17], -v[69:70]
	s_mov_b32 s20, 0x7f775887
	v_add_f64 v[71:72], v[4:5], v[71:72]
	s_mov_b32 s25, 0x3fed1bb4
	s_mov_b32 s24, 0x8eee2c13
	;; [unrolled: 1-line block ×3, first 2 shown]
	v_add_f64 v[6:7], v[44:45], v[22:23]
	v_fma_f64 v[69:70], v[58:59], s[16:17], v[69:70]
	v_add_f64 v[14:15], v[4:5], v[14:15]
	v_mul_f64 v[83:84], v[73:74], s[24:25]
	v_fma_f64 v[85:86], v[8:9], s[20:21], -v[79:80]
	v_add_f64 v[71:72], v[81:82], v[71:72]
	v_mul_f64 v[81:82], v[2:3], s[18:19]
	s_mov_b32 s22, 0xd9c712b6
	s_mov_b32 s28, 0x43842ef
	;; [unrolled: 1-line block ×6, first 2 shown]
	v_fma_f64 v[79:80], v[8:9], s[20:21], v[79:80]
	v_fma_f64 v[87:88], v[6:7], s[22:23], -v[83:84]
	v_add_f64 v[14:15], v[69:70], v[14:15]
	v_add_f64 v[69:70], v[85:86], v[71:72]
	v_add_f64 v[71:72], v[28:29], -v[30:31]
	v_fma_f64 v[85:86], v[12:13], s[20:21], -v[81:82]
	v_mul_f64 v[89:90], v[10:11], s[30:31]
	v_fma_f64 v[81:82], v[12:13], s[20:21], v[81:82]
	s_mov_b32 s26, 0x640f44db
	s_mov_b32 s27, 0xbfc2375f
	s_mov_b32 s35, 0xbfe14ced
	s_mov_b32 s34, s14
	v_fma_f64 v[83:84], v[6:7], s[22:23], v[83:84]
	v_add_f64 v[14:15], v[79:80], v[14:15]
	v_add_f64 v[79:80], v[18:19], v[20:21]
	v_mul_f64 v[91:92], v[71:72], s[28:29]
	v_add_f64 v[85:86], v[4:5], v[85:86]
	v_fma_f64 v[93:94], v[58:59], s[26:27], -v[89:90]
	v_mul_f64 v[95:96], v[16:17], s[34:35]
	v_add_f64 v[69:70], v[87:88], v[69:70]
	v_mul_f64 v[87:88], v[2:3], s[28:29]
	v_fma_f64 v[89:90], v[58:59], s[26:27], v[89:90]
	v_add_f64 v[81:82], v[4:5], v[81:82]
	s_mov_b32 s37, 0x3fd207e7
	s_mov_b32 s36, s8
	v_add_f64 v[14:15], v[83:84], v[14:15]
	v_fma_f64 v[83:84], v[79:80], s[26:27], -v[91:92]
	v_add_f64 v[85:86], v[93:94], v[85:86]
	v_fma_f64 v[93:94], v[8:9], s[16:17], -v[95:96]
	v_mul_f64 v[97:98], v[73:74], s[8:9]
	v_fma_f64 v[99:100], v[12:13], s[26:27], -v[87:88]
	v_mul_f64 v[101:102], v[10:11], s[36:37]
	v_add_f64 v[81:82], v[89:90], v[81:82]
	v_fma_f64 v[89:90], v[8:9], s[16:17], v[95:96]
	v_fma_f64 v[87:88], v[12:13], s[26:27], v[87:88]
	v_fma_f64 v[91:92], v[79:80], s[26:27], v[91:92]
	v_add_f64 v[85:86], v[93:94], v[85:86]
	v_fma_f64 v[93:94], v[6:7], s[6:7], -v[97:98]
	v_add_f64 v[69:70], v[83:84], v[69:70]
	v_mul_f64 v[83:84], v[71:72], s[24:25]
	v_add_f64 v[99:100], v[4:5], v[99:100]
	v_fma_f64 v[103:104], v[58:59], s[6:7], -v[101:102]
	v_mul_f64 v[105:106], v[16:17], s[24:25]
	v_add_f64 v[81:82], v[89:90], v[81:82]
	v_fma_f64 v[89:90], v[58:59], s[6:7], v[101:102]
	v_add_f64 v[87:88], v[4:5], v[87:88]
	v_add_f64 v[101:102], v[4:5], v[54:55]
	s_mov_b32 s25, 0xbfed1bb4
	v_add_f64 v[14:15], v[91:92], v[14:15]
	v_add_f64 v[85:86], v[93:94], v[85:86]
	v_fma_f64 v[91:92], v[79:80], s[22:23], -v[83:84]
	v_add_f64 v[93:94], v[103:104], v[99:100]
	v_fma_f64 v[95:96], v[8:9], s[22:23], -v[105:106]
	v_mul_f64 v[99:100], v[73:74], s[34:35]
	v_mul_f64 v[103:104], v[2:3], s[24:25]
	v_add_f64 v[87:88], v[89:90], v[87:88]
	v_add_f64 v[89:90], v[101:102], v[50:51]
	v_fma_f64 v[97:98], v[6:7], s[6:7], v[97:98]
	v_add_f64 v[85:86], v[91:92], v[85:86]
	v_mul_f64 v[91:92], v[10:11], s[18:19]
	v_add_f64 v[93:94], v[95:96], v[93:94]
	v_fma_f64 v[95:96], v[6:7], s[16:17], -v[99:100]
	v_fma_f64 v[107:108], v[12:13], s[22:23], -v[103:104]
	v_mul_f64 v[2:3], v[2:3], s[34:35]
	v_add_f64 v[89:90], v[89:90], v[46:47]
	v_add_f64 v[81:82], v[97:98], v[81:82]
	v_fma_f64 v[97:98], v[12:13], s[22:23], v[103:104]
	v_fma_f64 v[103:104], v[58:59], s[20:21], -v[91:92]
	v_fma_f64 v[101:102], v[8:9], s[22:23], v[105:106]
	v_add_f64 v[93:94], v[95:96], v[93:94]
	v_add_f64 v[95:96], v[4:5], v[107:108]
	v_mul_f64 v[105:106], v[16:17], s[36:37]
	v_add_f64 v[89:90], v[89:90], v[44:45]
	v_fma_f64 v[91:92], v[58:59], s[20:21], v[91:92]
	v_add_f64 v[97:98], v[4:5], v[97:98]
	v_mul_f64 v[10:11], v[10:11], s[24:25]
	v_mul_f64 v[16:17], v[16:17], s[28:29]
	v_add_f64 v[87:88], v[101:102], v[87:88]
	v_add_f64 v[95:96], v[103:104], v[95:96]
	v_fma_f64 v[103:104], v[12:13], s[16:17], v[2:3]
	v_fma_f64 v[2:3], v[12:13], s[16:17], -v[2:3]
	v_add_f64 v[89:90], v[89:90], v[18:19]
	v_add_f64 v[12:13], v[91:92], v[97:98]
	v_fma_f64 v[91:92], v[8:9], s[6:7], v[105:106]
	v_fma_f64 v[97:98], v[58:59], s[22:23], v[10:11]
	;; [unrolled: 1-line block ×3, first 2 shown]
	v_mul_f64 v[107:108], v[73:74], s[30:31]
	v_add_f64 v[103:104], v[4:5], v[103:104]
	v_add_f64 v[2:3], v[4:5], v[2:3]
	v_fma_f64 v[4:5], v[58:59], s[22:23], -v[10:11]
	v_add_f64 v[58:59], v[89:90], v[20:21]
	v_add_f64 v[12:13], v[91:92], v[12:13]
	v_fma_f64 v[89:90], v[8:9], s[26:27], v[16:17]
	v_mul_f64 v[73:74], v[73:74], s[18:19]
	v_fma_f64 v[101:102], v[8:9], s[6:7], -v[105:106]
	v_add_f64 v[91:92], v[97:98], v[103:104]
	v_fma_f64 v[97:98], v[6:7], s[26:27], v[107:108]
	v_add_f64 v[2:3], v[4:5], v[2:3]
	v_fma_f64 v[4:5], v[8:9], s[26:27], -v[16:17]
	v_add_f64 v[16:17], v[58:59], v[22:23]
	v_add_f64 v[8:9], v[99:100], v[87:88]
	v_fma_f64 v[87:88], v[6:7], s[20:21], v[73:74]
	v_add_f64 v[95:96], v[101:102], v[95:96]
	v_add_f64 v[58:59], v[89:90], v[91:92]
	v_mul_f64 v[89:90], v[71:72], s[18:19]
	v_fma_f64 v[10:11], v[6:7], s[26:27], -v[107:108]
	v_add_f64 v[2:3], v[4:5], v[2:3]
	v_mul_f64 v[4:5], v[71:72], s[8:9]
	v_add_f64 v[16:17], v[16:17], v[24:25]
	v_mul_f64 v[71:72], v[71:72], s[14:15]
	v_fma_f64 v[6:7], v[6:7], s[20:21], -v[73:74]
	v_add_f64 v[58:59], v[87:88], v[58:59]
	v_fma_f64 v[73:74], v[79:80], s[22:23], v[83:84]
	v_fma_f64 v[83:84], v[79:80], s[20:21], -v[89:90]
	v_fma_f64 v[87:88], v[79:80], s[20:21], v[89:90]
	v_fma_f64 v[89:90], v[79:80], s[6:7], v[4:5]
	v_add_f64 v[16:17], v[16:17], v[40:41]
	v_add_f64 v[12:13], v[97:98], v[12:13]
	v_fma_f64 v[91:92], v[79:80], s[16:17], v[71:72]
	v_add_f64 v[10:11], v[10:11], v[95:96]
	v_fma_f64 v[71:72], v[79:80], s[16:17], -v[71:72]
	v_fma_f64 v[4:5], v[79:80], s[6:7], -v[4:5]
	v_add_f64 v[2:3], v[6:7], v[2:3]
	v_add_f64 v[58:59], v[89:90], v[58:59]
	;; [unrolled: 1-line block ×9, first 2 shown]
	v_mul_u32_u24_e32 v4, 0xb0, v68
	v_or_b32_e32 v4, v4, v65
	v_lshl_add_u32 v4, v4, 3, 0
	ds_write2_b64 v4, v[16:17], v[58:59] offset1:16
	ds_write2_b64 v4, v[12:13], v[8:9] offset0:32 offset1:48
	ds_write2_b64 v4, v[6:7], v[14:15] offset0:64 offset1:80
	;; [unrolled: 1-line block ×4, first 2 shown]
	ds_write_b64 v4, v[2:3] offset:1280
.LBB0_41:
	s_or_b64 exec, exec, s[2:3]
	v_add_u32_e32 v69, 0xa00, v77
	v_add_u32_e32 v71, 0x2000, v77
	;; [unrolled: 1-line block ×3, first 2 shown]
	s_waitcnt lgkmcnt(0)
	s_barrier
	ds_read2_b64 v[6:9], v77 offset1:176
	ds_read2_b64 v[2:5], v69 offset0:32 offset1:208
	ds_read2_b64 v[14:17], v71 offset0:32 offset1:208
	;; [unrolled: 1-line block ×3, first 2 shown]
	ds_read_b64 v[58:59], v77 offset:11264
	s_waitcnt lgkmcnt(0)
	s_barrier
	s_and_saveexec_b64 s[2:3], vcc
	s_cbranch_execz .LBB0_43
; %bb.42:
	v_add_f64 v[72:73], v[0:1], v[56:57]
	v_add_f64 v[42:43], v[54:55], -v[42:43]
	v_add_f64 v[56:57], v[56:57], v[26:27]
	s_mov_b32 s14, 0x8764f0ba
	s_mov_b32 s18, 0xd9c712b6
	;; [unrolled: 1-line block ×4, first 2 shown]
	v_add_f64 v[40:41], v[50:51], -v[40:41]
	v_add_f64 v[54:55], v[72:73], v[52:53]
	v_add_f64 v[52:53], v[52:53], v[38:39]
	v_mul_f64 v[50:51], v[56:57], s[14:15]
	v_mul_f64 v[72:73], v[56:57], s[18:19]
	s_mov_b32 s6, 0xf8bb580b
	s_mov_b32 s16, 0x8eee2c13
	;; [unrolled: 1-line block ×4, first 2 shown]
	v_add_f64 v[54:55], v[54:55], v[48:49]
	s_mov_b32 s38, 0x9bcd5057
	s_mov_b32 s7, 0x3fe14ced
	;; [unrolled: 1-line block ×6, first 2 shown]
	v_mul_f64 v[74:75], v[56:57], s[24:25]
	v_add_f64 v[54:55], v[54:55], v[32:33]
	v_mul_f64 v[79:80], v[56:57], s[34:35]
	v_mul_f64 v[56:57], v[56:57], s[38:39]
	;; [unrolled: 1-line block ×4, first 2 shown]
	v_fma_f64 v[87:88], v[42:43], s[6:7], v[50:51]
	v_fma_f64 v[89:90], v[42:43], s[16:17], v[72:73]
	s_mov_b32 s22, 0x43842ef
	v_add_f64 v[54:55], v[54:55], v[28:29]
	s_mov_b32 s28, 0xbb3a28a1
	s_mov_b32 s36, 0xfd768dbf
	;; [unrolled: 1-line block ×7, first 2 shown]
	v_add_f64 v[54:55], v[54:55], v[30:31]
	s_mov_b32 s31, 0xbfe82f19
	s_mov_b32 s37, 0x3fd207e7
	;; [unrolled: 1-line block ×7, first 2 shown]
	v_add_f64 v[54:55], v[54:55], v[34:35]
	s_mov_b32 s40, s36
	v_mul_f64 v[85:86], v[52:53], s[38:39]
	v_fma_f64 v[50:51], v[42:43], s[8:9], v[50:51]
	v_fma_f64 v[72:73], v[42:43], s[20:21], v[72:73]
	;; [unrolled: 1-line block ×5, first 2 shown]
	v_add_f64 v[54:55], v[54:55], v[36:37]
	v_fma_f64 v[79:80], v[42:43], s[30:31], v[79:80]
	v_fma_f64 v[95:96], v[42:43], s[36:37], v[56:57]
	;; [unrolled: 1-line block ×4, first 2 shown]
	v_add_f64 v[87:88], v[0:1], v[87:88]
	v_fma_f64 v[81:82], v[40:41], s[20:21], v[81:82]
	v_add_f64 v[50:51], v[0:1], v[50:51]
	v_add_f64 v[38:39], v[54:55], v[38:39]
	;; [unrolled: 1-line block ×10, first 2 shown]
	v_fma_f64 v[38:39], v[40:41], s[28:29], v[83:84]
	v_add_f64 v[0:1], v[0:1], v[42:43]
	v_add_f64 v[42:43], v[56:57], v[87:88]
	v_fma_f64 v[56:57], v[40:41], s[30:31], v[83:84]
	v_mul_f64 v[83:84], v[52:53], s[24:25]
	v_add_f64 v[36:37], v[48:49], v[36:37]
	v_mul_f64 v[52:53], v[52:53], s[14:15]
	v_add_f64 v[50:51], v[81:82], v[50:51]
	v_add_f64 v[38:39], v[38:39], v[54:55]
	v_fma_f64 v[54:55], v[40:41], s[36:37], v[85:86]
	v_add_f64 v[24:25], v[46:47], -v[24:25]
	v_add_f64 v[56:57], v[56:57], v[72:73]
	v_fma_f64 v[72:73], v[40:41], s[26:27], v[83:84]
	v_mul_f64 v[46:47], v[36:37], s[24:25]
	v_fma_f64 v[81:82], v[40:41], s[22:23], v[83:84]
	v_fma_f64 v[83:84], v[40:41], s[8:9], v[52:53]
	v_add_f64 v[32:33], v[32:33], v[34:35]
	v_add_f64 v[54:55], v[54:55], v[74:75]
	v_mul_f64 v[74:75], v[36:37], s[38:39]
	v_fma_f64 v[48:49], v[40:41], s[40:41], v[85:86]
	v_fma_f64 v[40:41], v[40:41], s[6:7], v[52:53]
	;; [unrolled: 1-line block ×4, first 2 shown]
	v_add_f64 v[79:80], v[81:82], v[79:80]
	v_add_f64 v[81:82], v[83:84], v[93:94]
	v_mul_f64 v[83:84], v[36:37], s[18:19]
	v_fma_f64 v[85:86], v[24:25], s[40:41], v[74:75]
	v_fma_f64 v[74:75], v[24:25], s[36:37], v[74:75]
	v_mul_f64 v[34:35], v[36:37], s[14:15]
	v_mul_f64 v[36:37], v[36:37], s[34:35]
	v_add_f64 v[22:23], v[44:45], -v[22:23]
	v_mul_f64 v[44:45], v[32:33], s[34:35]
	v_add_f64 v[72:73], v[72:73], v[91:92]
	v_add_f64 v[0:1], v[40:41], v[0:1]
	v_add_f64 v[40:41], v[52:53], v[42:43]
	v_add_f64 v[42:43], v[46:47], v[50:51]
	v_add_f64 v[50:51], v[74:75], v[56:57]
	v_fma_f64 v[52:53], v[24:25], s[16:17], v[83:84]
	v_fma_f64 v[56:57], v[24:25], s[6:7], v[34:35]
	;; [unrolled: 1-line block ×3, first 2 shown]
	v_add_f64 v[48:49], v[48:49], v[89:90]
	v_fma_f64 v[46:47], v[24:25], s[20:21], v[83:84]
	v_fma_f64 v[34:35], v[24:25], s[8:9], v[34:35]
	;; [unrolled: 1-line block ×4, first 2 shown]
	v_add_f64 v[52:53], v[52:53], v[54:55]
	v_add_f64 v[54:55], v[56:57], v[72:73]
	v_fma_f64 v[44:45], v[22:23], s[30:31], v[44:45]
	v_add_f64 v[72:73], v[74:75], v[81:82]
	v_mul_f64 v[74:75], v[32:33], s[14:15]
	v_add_f64 v[46:47], v[46:47], v[48:49]
	v_mul_f64 v[48:49], v[32:33], s[24:25]
	v_add_f64 v[0:1], v[24:25], v[0:1]
	v_add_f64 v[24:25], v[36:37], v[40:41]
	v_mul_f64 v[36:37], v[32:33], s[38:39]
	v_add_f64 v[28:29], v[28:29], v[30:31]
	v_add_f64 v[40:41], v[44:45], v[42:43]
	v_fma_f64 v[42:43], v[22:23], s[6:7], v[74:75]
	v_mul_f64 v[32:33], v[32:33], s[18:19]
	v_fma_f64 v[56:57], v[22:23], s[26:27], v[48:49]
	v_add_f64 v[34:35], v[34:35], v[79:80]
	v_fma_f64 v[30:31], v[22:23], s[22:23], v[48:49]
	v_fma_f64 v[48:49], v[22:23], s[36:37], v[36:37]
	;; [unrolled: 1-line block ×3, first 2 shown]
	v_add_f64 v[18:19], v[18:19], -v[20:21]
	v_mul_f64 v[20:21], v[28:29], s[38:39]
	v_fma_f64 v[44:45], v[22:23], s[8:9], v[74:75]
	v_add_f64 v[42:43], v[42:43], v[46:47]
	v_fma_f64 v[46:47], v[22:23], s[20:21], v[32:33]
	v_fma_f64 v[22:23], v[22:23], s[16:17], v[32:33]
	v_add_f64 v[38:39], v[85:86], v[38:39]
	v_add_f64 v[30:31], v[30:31], v[50:51]
	;; [unrolled: 1-line block ×3, first 2 shown]
	v_fma_f64 v[34:35], v[18:19], s[36:37], v[20:21]
	v_mul_f64 v[36:37], v[28:29], s[14:15]
	v_mul_f64 v[50:51], v[28:29], s[34:35]
	v_add_f64 v[44:45], v[44:45], v[52:53]
	v_fma_f64 v[20:21], v[18:19], s[40:41], v[20:21]
	v_mul_f64 v[52:53], v[28:29], s[18:19]
	v_add_f64 v[0:1], v[22:23], v[0:1]
	v_mul_f64 v[22:23], v[28:29], s[24:25]
	v_add_f64 v[38:39], v[56:57], v[38:39]
	v_add_f64 v[24:25], v[34:35], v[24:25]
	v_fma_f64 v[28:29], v[18:19], s[8:9], v[36:37]
	v_fma_f64 v[34:35], v[18:19], s[6:7], v[36:37]
	;; [unrolled: 1-line block ×3, first 2 shown]
	v_add_f64 v[48:49], v[48:49], v[54:55]
	v_add_f64 v[46:47], v[46:47], v[72:73]
	;; [unrolled: 1-line block ×3, first 2 shown]
	v_fma_f64 v[40:41], v[18:19], s[20:21], v[52:53]
	v_fma_f64 v[54:55], v[18:19], s[22:23], v[22:23]
	;; [unrolled: 1-line block ×5, first 2 shown]
	v_add_f64 v[28:29], v[28:29], v[38:39]
	v_add_f64 v[30:31], v[34:35], v[30:31]
	;; [unrolled: 1-line block ×8, first 2 shown]
	v_mul_u32_u24_e32 v22, 0xb0, v68
	v_or_b32_e32 v22, v22, v65
	v_lshl_add_u32 v22, v22, 3, 0
	ds_write2_b64 v22, v[26:27], v[24:25] offset1:16
	ds_write2_b64 v22, v[28:29], v[34:35] offset0:32 offset1:48
	ds_write2_b64 v22, v[36:37], v[38:39] offset0:64 offset1:80
	;; [unrolled: 1-line block ×4, first 2 shown]
	ds_write_b64 v22, v[20:21] offset:1280
.LBB0_43:
	s_or_b64 exec, exec, s[2:3]
	v_mov_b32_e32 v65, 0
	v_lshlrev_b64 v[0:1], 4, v[64:65]
	s_mov_b32 s2, 0xba2f
	v_mov_b32_e32 v19, s13
	v_add_co_u32_e32 v18, vcc, s12, v0
	v_mul_u32_u24_sdwa v0, v78, s2 dst_sel:DWORD dst_unused:UNUSED_PAD src0_sel:WORD_0 src1_sel:DWORD
	v_addc_co_u32_e32 v19, vcc, v19, v1, vcc
	v_lshrrev_b32_e32 v0, 23, v0
	s_waitcnt lgkmcnt(0)
	s_barrier
	global_load_dwordx4 v[20:23], v[18:19], off offset:2752
	global_load_dwordx4 v[24:27], v[18:19], off offset:2768
	v_mul_lo_u16_e32 v0, 0xb0, v0
	v_sub_u16_e32 v52, v78, v0
	v_lshlrev_b32_e32 v0, 5, v52
	global_load_dwordx4 v[28:31], v0, s[12:13] offset:2752
	global_load_dwordx4 v[32:35], v0, s[12:13] offset:2768
	ds_read2_b64 v[36:39], v77 offset1:176
	ds_read2_b64 v[40:43], v69 offset0:32 offset1:208
	ds_read2_b64 v[44:47], v71 offset0:32 offset1:208
	;; [unrolled: 1-line block ×3, first 2 shown]
	ds_read_b64 v[0:1], v77 offset:11264
	v_lshl_add_u32 v64, v52, 3, 0
	s_mov_b32 s2, 0xe8584caa
	s_mov_b32 s3, 0xbfebb67a
	;; [unrolled: 1-line block ×4, first 2 shown]
	s_waitcnt vmcnt(0) lgkmcnt(0)
	s_barrier
	v_add_u32_e32 v68, 0x2000, v64
	v_mul_f64 v[52:53], v[42:43], v[22:23]
	v_mul_f64 v[56:57], v[44:45], v[26:27]
	;; [unrolled: 1-line block ×12, first 2 shown]
	v_fma_f64 v[4:5], v[4:5], v[20:21], v[52:53]
	v_fma_f64 v[14:15], v[14:15], v[24:25], v[56:57]
	v_fma_f64 v[42:43], v[42:43], v[20:21], -v[54:55]
	v_fma_f64 v[44:45], v[44:45], v[24:25], -v[72:73]
	v_fma_f64 v[10:11], v[10:11], v[20:21], v[74:75]
	v_fma_f64 v[16:17], v[16:17], v[24:25], v[78:79]
	v_fma_f64 v[20:21], v[48:49], v[20:21], -v[22:23]
	v_fma_f64 v[22:23], v[46:47], v[24:25], -v[26:27]
	;; [unrolled: 4-line block ×3, first 2 shown]
	v_add_f64 v[30:31], v[4:5], v[14:15]
	v_add_f64 v[32:33], v[42:43], -v[44:45]
	v_add_f64 v[34:35], v[36:37], v[42:43]
	v_add_f64 v[42:43], v[42:43], v[44:45]
	;; [unrolled: 1-line block ×5, first 2 shown]
	v_add_f64 v[50:51], v[20:21], -v[22:23]
	v_add_f64 v[52:53], v[38:39], v[20:21]
	v_add_f64 v[20:21], v[20:21], v[22:23]
	v_add_f64 v[58:59], v[24:25], -v[0:1]
	v_add_f64 v[72:73], v[40:41], v[24:25]
	v_add_f64 v[24:25], v[24:25], v[0:1]
	v_fma_f64 v[6:7], v[30:31], -0.5, v[6:7]
	v_add_f64 v[46:47], v[8:9], v[10:11]
	v_add_f64 v[4:5], v[4:5], -v[14:15]
	v_fma_f64 v[30:31], v[42:43], -0.5, v[36:37]
	v_fma_f64 v[8:9], v[48:49], -0.5, v[8:9]
	v_add_f64 v[54:55], v[2:3], v[12:13]
	v_fma_f64 v[2:3], v[56:57], -0.5, v[2:3]
	v_add_f64 v[10:11], v[10:11], -v[16:17]
	v_add_f64 v[12:13], v[12:13], -v[26:27]
	v_add_f64 v[14:15], v[28:29], v[14:15]
	v_add_f64 v[28:29], v[34:35], v[44:45]
	v_fma_f64 v[20:21], v[20:21], -0.5, v[38:39]
	v_add_f64 v[34:35], v[72:73], v[0:1]
	v_fma_f64 v[0:1], v[24:25], -0.5, v[40:41]
	v_fma_f64 v[24:25], v[32:33], s[2:3], v[6:7]
	v_add_f64 v[16:17], v[46:47], v[16:17]
	v_fma_f64 v[6:7], v[32:33], s[6:7], v[6:7]
	v_fma_f64 v[32:33], v[4:5], s[6:7], v[30:31]
	;; [unrolled: 1-line block ×5, first 2 shown]
	v_add_f64 v[26:27], v[54:55], v[26:27]
	v_fma_f64 v[38:39], v[58:59], s[2:3], v[2:3]
	v_fma_f64 v[2:3], v[58:59], s[6:7], v[2:3]
	;; [unrolled: 1-line block ×6, first 2 shown]
	ds_write2_b64 v77, v[14:15], v[24:25] offset1:176
	ds_write2_b64 v69, v[6:7], v[16:17] offset0:32 offset1:208
	ds_write2_b64 v70, v[4:5], v[8:9] offset0:64 offset1:240
	;; [unrolled: 1-line block ×3, first 2 shown]
	ds_write_b64 v64, v[2:3] offset:11264
	s_waitcnt lgkmcnt(0)
	s_barrier
	ds_read2_b64 v[0:3], v77 offset1:176
	ds_read2_b64 v[4:7], v69 offset0:32 offset1:208
	ds_read2_b64 v[8:11], v71 offset0:32 offset1:208
	;; [unrolled: 1-line block ×3, first 2 shown]
	ds_read_b64 v[16:17], v77 offset:11264
	v_add_f64 v[22:23], v[52:53], v[22:23]
	s_waitcnt lgkmcnt(0)
	s_barrier
	ds_write2_b64 v77, v[28:29], v[32:33] offset1:176
	ds_write2_b64 v69, v[30:31], v[22:23] offset0:32 offset1:208
	ds_write2_b64 v70, v[36:37], v[20:21] offset0:64 offset1:240
	ds_write2_b64 v68, v[34:35], v[40:41] offset0:32 offset1:208
	ds_write_b64 v64, v[42:43] offset:11264
	s_waitcnt lgkmcnt(0)
	s_barrier
	s_and_saveexec_b64 s[8:9], s[0:1]
	s_cbranch_execz .LBB0_45
; %bb.44:
	v_mov_b32_e32 v68, v65
	v_lshlrev_b64 v[20:21], 4, v[67:68]
	v_mov_b32_e32 v32, s13
	v_add_co_u32_e32 v20, vcc, s12, v20
	v_addc_co_u32_e32 v21, vcc, v32, v21, vcc
	s_movk_i32 s1, 0x20c0
	v_add_co_u32_e32 v28, vcc, s1, v20
	v_addc_co_u32_e32 v29, vcc, 0, v21, vcc
	s_movk_i32 s0, 0x2000
	v_add_co_u32_e32 v30, vcc, s0, v20
	v_addc_co_u32_e32 v31, vcc, 0, v21, vcc
	v_mov_b32_e32 v67, v65
	global_load_dwordx4 v[20:23], v[30:31], off offset:192
	global_load_dwordx4 v[24:27], v[28:29], off offset:16
	v_lshlrev_b64 v[28:29], 4, v[66:67]
	v_add_u32_e32 v48, 0xa00, v77
	v_add_co_u32_e32 v38, vcc, s12, v28
	v_addc_co_u32_e32 v39, vcc, v32, v29, vcc
	v_add_co_u32_e32 v36, vcc, s1, v18
	v_addc_co_u32_e32 v37, vcc, 0, v19, vcc
	;; [unrolled: 2-line block ×3, first 2 shown]
	global_load_dwordx4 v[28:31], v[18:19], off offset:192
	global_load_dwordx4 v[32:35], v[36:37], off offset:16
	v_add_co_u32_e32 v18, vcc, s1, v38
	v_addc_co_u32_e32 v19, vcc, 0, v39, vcc
	v_add_co_u32_e32 v44, vcc, s0, v38
	v_addc_co_u32_e32 v45, vcc, 0, v39, vcc
	global_load_dwordx4 v[36:39], v[44:45], off offset:192
	global_load_dwordx4 v[40:43], v[18:19], off offset:16
	v_add_u32_e32 v52, 0x1400, v77
	v_add_u32_e32 v56, 0x2000, v77
	ds_read_b64 v[18:19], v77 offset:11264
	ds_read2_b64 v[44:47], v77 offset1:176
	ds_read2_b64 v[48:51], v48 offset0:32 offset1:208
	ds_read2_b64 v[52:55], v52 offset0:64 offset1:240
	;; [unrolled: 1-line block ×3, first 2 shown]
	v_mul_lo_u32 v64, s5, v62
	v_mul_lo_u32 v66, s4, v63
	v_mad_u64_u32 v[62:63], s[4:5], s4, v62, 0
	s_mov_b32 s1, 0x3e0f83e1
	v_add3_u32 v63, v63, v66, v64
	s_waitcnt vmcnt(5)
	v_mul_f64 v[70:71], v[14:15], v[22:23]
	s_waitcnt vmcnt(4)
	v_mul_f64 v[72:73], v[16:17], v[26:27]
	s_waitcnt lgkmcnt(1)
	v_mul_f64 v[22:23], v[54:55], v[22:23]
	v_mul_f64 v[26:27], v[18:19], v[26:27]
	v_fma_f64 v[18:19], v[18:19], v[24:25], -v[72:73]
	v_fma_f64 v[14:15], v[14:15], v[20:21], v[22:23]
	v_fma_f64 v[16:17], v[16:17], v[24:25], v[26:27]
	s_waitcnt vmcnt(3)
	v_mul_f64 v[66:67], v[6:7], v[30:31]
	s_waitcnt vmcnt(2)
	v_mul_f64 v[68:69], v[8:9], v[34:35]
	v_mul_f64 v[30:31], v[50:51], v[30:31]
	s_waitcnt lgkmcnt(0)
	v_mul_f64 v[34:35], v[56:57], v[34:35]
	v_fma_f64 v[50:51], v[50:51], v[28:29], -v[66:67]
	s_waitcnt vmcnt(1)
	v_mul_f64 v[74:75], v[12:13], v[38:39]
	s_waitcnt vmcnt(0)
	v_mul_f64 v[77:78], v[10:11], v[42:43]
	v_mul_f64 v[38:39], v[52:53], v[38:39]
	;; [unrolled: 1-line block ×3, first 2 shown]
	v_fma_f64 v[56:57], v[56:57], v[32:33], -v[68:69]
	v_fma_f64 v[6:7], v[6:7], v[28:29], v[30:31]
	v_fma_f64 v[32:33], v[8:9], v[32:33], v[34:35]
	v_fma_f64 v[8:9], v[54:55], v[20:21], -v[70:71]
	v_fma_f64 v[20:21], v[52:53], v[36:37], -v[74:75]
	;; [unrolled: 1-line block ×3, first 2 shown]
	v_fma_f64 v[12:13], v[12:13], v[36:37], v[38:39]
	v_fma_f64 v[24:25], v[10:11], v[40:41], v[42:43]
	v_add_f64 v[10:11], v[50:51], v[56:57]
	v_add_f64 v[34:35], v[44:45], v[50:51]
	v_add_f64 v[28:29], v[6:7], -v[32:33]
	v_add_f64 v[36:37], v[50:51], -v[56:57]
	v_add_f64 v[26:27], v[6:7], v[32:33]
	v_add_f64 v[38:39], v[0:1], v[6:7]
	;; [unrolled: 1-line block ×3, first 2 shown]
	v_add_f64 v[30:31], v[14:15], -v[16:17]
	v_add_f64 v[40:41], v[48:49], v[8:9]
	v_add_f64 v[42:43], v[8:9], -v[18:19]
	v_add_f64 v[8:9], v[14:15], v[16:17]
	v_add_f64 v[14:15], v[4:5], v[14:15]
	v_add_f64 v[50:51], v[20:21], v[22:23]
	v_add_f64 v[58:59], v[12:13], v[24:25]
	v_add_f64 v[52:53], v[12:13], -v[24:25]
	v_add_f64 v[54:55], v[46:47], v[20:21]
	v_add_f64 v[20:21], v[20:21], -v[22:23]
	v_add_f64 v[12:13], v[2:3], v[12:13]
	v_fma_f64 v[44:45], v[10:11], -0.5, v[44:45]
	v_fma_f64 v[66:67], v[26:27], -0.5, v[0:1]
	;; [unrolled: 1-line block ×3, first 2 shown]
	v_add_f64 v[6:7], v[40:41], v[18:19]
	v_fma_f64 v[18:19], v[8:9], -0.5, v[4:5]
	v_add_f64 v[4:5], v[14:15], v[16:17]
	v_fma_f64 v[16:17], v[50:51], -0.5, v[46:47]
	v_fma_f64 v[26:27], v[58:59], -0.5, v[2:3]
	v_mul_hi_u32 v40, v76, s1
	v_add_f64 v[10:11], v[54:55], v[22:23]
	v_add_f64 v[8:9], v[12:13], v[24:25]
	v_fma_f64 v[2:3], v[30:31], s[2:3], v[0:1]
	v_fma_f64 v[14:15], v[30:31], s[6:7], v[0:1]
	;; [unrolled: 1-line block ×12, first 2 shown]
	v_lshrrev_b32_e32 v36, 7, v40
	v_mul_u32_u24_e32 v36, 0x210, v36
	v_add_f64 v[32:33], v[38:39], v[32:33]
	v_sub_u32_e32 v38, v76, v36
	v_lshlrev_b64 v[36:37], 4, v[62:63]
	v_add_f64 v[34:35], v[34:35], v[56:57]
	v_mov_b32_e32 v39, s11
	v_add_co_u32_e32 v40, vcc, s10, v36
	v_addc_co_u32_e32 v39, vcc, v39, v37, vcc
	v_lshlrev_b64 v[36:37], 4, v[60:61]
	v_add_co_u32_e32 v40, vcc, v40, v36
	v_addc_co_u32_e32 v39, vcc, v39, v37, vcc
	v_lshlrev_b32_e32 v36, 4, v38
	v_add_co_u32_e32 v36, vcc, v40, v36
	v_addc_co_u32_e32 v37, vcc, 0, v39, vcc
	global_store_dwordx4 v[36:37], v[32:35], off
	s_nop 0
	v_add_co_u32_e32 v32, vcc, s0, v36
	v_addc_co_u32_e32 v33, vcc, 0, v37, vcc
	global_store_dwordx4 v[32:33], v[28:31], off offset:256
	s_movk_i32 s0, 0x4000
	v_add_u32_e32 v30, 0xb0, v76
	v_mul_hi_u32 v31, v30, s1
	v_add_co_u32_e32 v28, vcc, s0, v36
	v_addc_co_u32_e32 v29, vcc, 0, v37, vcc
	global_store_dwordx4 v[28:29], v[24:27], off offset:512
	s_movk_i32 s0, 0x630
	v_lshrrev_b32_e32 v24, 7, v31
	v_mul_u32_u24_e32 v25, 0x210, v24
	v_sub_u32_e32 v25, v30, v25
	v_mad_u32_u24 v64, v24, s0, v25
	v_lshlrev_b64 v[24:25], 4, v[64:65]
	v_add_co_u32_e32 v24, vcc, v40, v24
	v_addc_co_u32_e32 v25, vcc, v39, v25, vcc
	global_store_dwordx4 v[24:25], v[8:11], off
	s_nop 0
	v_add_u32_e32 v8, 0x210, v64
	v_mov_b32_e32 v9, v65
	v_lshlrev_b64 v[8:9], 4, v[8:9]
	v_add_u32_e32 v64, 0x420, v64
	v_add_co_u32_e32 v8, vcc, v40, v8
	v_addc_co_u32_e32 v9, vcc, v39, v9, vcc
	v_add_u32_e32 v10, 0x160, v76
	global_store_dwordx4 v[8:9], v[20:23], off
	v_lshlrev_b64 v[8:9], 4, v[64:65]
	v_mul_hi_u32 v11, v10, s1
	v_add_co_u32_e32 v8, vcc, v40, v8
	v_addc_co_u32_e32 v9, vcc, v39, v9, vcc
	global_store_dwordx4 v[8:9], v[16:19], off
	v_lshrrev_b32_e32 v8, 7, v11
	v_mul_u32_u24_e32 v9, 0x210, v8
	v_sub_u32_e32 v9, v10, v9
	v_mad_u32_u24 v64, v8, s0, v9
	v_lshlrev_b64 v[8:9], 4, v[64:65]
	v_add_co_u32_e32 v8, vcc, v40, v8
	v_addc_co_u32_e32 v9, vcc, v39, v9, vcc
	global_store_dwordx4 v[8:9], v[4:7], off
	s_nop 0
	v_add_u32_e32 v4, 0x210, v64
	v_mov_b32_e32 v5, v65
	v_lshlrev_b64 v[4:5], 4, v[4:5]
	v_add_u32_e32 v64, 0x420, v64
	v_add_co_u32_e32 v4, vcc, v40, v4
	v_addc_co_u32_e32 v5, vcc, v39, v5, vcc
	global_store_dwordx4 v[4:5], v[12:15], off
	v_lshlrev_b64 v[4:5], 4, v[64:65]
	v_add_co_u32_e32 v4, vcc, v40, v4
	v_addc_co_u32_e32 v5, vcc, v39, v5, vcc
	global_store_dwordx4 v[4:5], v[0:3], off
.LBB0_45:
	s_endpgm
	.section	.rodata,"a",@progbits
	.p2align	6, 0x0
	.amdhsa_kernel fft_rtc_back_len1584_factors_4_2_2_11_3_3_wgs_176_tpt_176_halfLds_dp_op_CI_CI_unitstride_sbrr_dirReg
		.amdhsa_group_segment_fixed_size 0
		.amdhsa_private_segment_fixed_size 0
		.amdhsa_kernarg_size 104
		.amdhsa_user_sgpr_count 6
		.amdhsa_user_sgpr_private_segment_buffer 1
		.amdhsa_user_sgpr_dispatch_ptr 0
		.amdhsa_user_sgpr_queue_ptr 0
		.amdhsa_user_sgpr_kernarg_segment_ptr 1
		.amdhsa_user_sgpr_dispatch_id 0
		.amdhsa_user_sgpr_flat_scratch_init 0
		.amdhsa_user_sgpr_private_segment_size 0
		.amdhsa_uses_dynamic_stack 0
		.amdhsa_system_sgpr_private_segment_wavefront_offset 0
		.amdhsa_system_sgpr_workgroup_id_x 1
		.amdhsa_system_sgpr_workgroup_id_y 0
		.amdhsa_system_sgpr_workgroup_id_z 0
		.amdhsa_system_sgpr_workgroup_info 0
		.amdhsa_system_vgpr_workitem_id 0
		.amdhsa_next_free_vgpr 119
		.amdhsa_next_free_sgpr 42
		.amdhsa_reserve_vcc 1
		.amdhsa_reserve_flat_scratch 0
		.amdhsa_float_round_mode_32 0
		.amdhsa_float_round_mode_16_64 0
		.amdhsa_float_denorm_mode_32 3
		.amdhsa_float_denorm_mode_16_64 3
		.amdhsa_dx10_clamp 1
		.amdhsa_ieee_mode 1
		.amdhsa_fp16_overflow 0
		.amdhsa_exception_fp_ieee_invalid_op 0
		.amdhsa_exception_fp_denorm_src 0
		.amdhsa_exception_fp_ieee_div_zero 0
		.amdhsa_exception_fp_ieee_overflow 0
		.amdhsa_exception_fp_ieee_underflow 0
		.amdhsa_exception_fp_ieee_inexact 0
		.amdhsa_exception_int_div_zero 0
	.end_amdhsa_kernel
	.text
.Lfunc_end0:
	.size	fft_rtc_back_len1584_factors_4_2_2_11_3_3_wgs_176_tpt_176_halfLds_dp_op_CI_CI_unitstride_sbrr_dirReg, .Lfunc_end0-fft_rtc_back_len1584_factors_4_2_2_11_3_3_wgs_176_tpt_176_halfLds_dp_op_CI_CI_unitstride_sbrr_dirReg
                                        ; -- End function
	.section	.AMDGPU.csdata,"",@progbits
; Kernel info:
; codeLenInByte = 9336
; NumSgprs: 46
; NumVgprs: 119
; ScratchSize: 0
; MemoryBound: 1
; FloatMode: 240
; IeeeMode: 1
; LDSByteSize: 0 bytes/workgroup (compile time only)
; SGPRBlocks: 5
; VGPRBlocks: 29
; NumSGPRsForWavesPerEU: 46
; NumVGPRsForWavesPerEU: 119
; Occupancy: 2
; WaveLimiterHint : 1
; COMPUTE_PGM_RSRC2:SCRATCH_EN: 0
; COMPUTE_PGM_RSRC2:USER_SGPR: 6
; COMPUTE_PGM_RSRC2:TRAP_HANDLER: 0
; COMPUTE_PGM_RSRC2:TGID_X_EN: 1
; COMPUTE_PGM_RSRC2:TGID_Y_EN: 0
; COMPUTE_PGM_RSRC2:TGID_Z_EN: 0
; COMPUTE_PGM_RSRC2:TIDIG_COMP_CNT: 0
	.type	__hip_cuid_73296587dd904843,@object ; @__hip_cuid_73296587dd904843
	.section	.bss,"aw",@nobits
	.globl	__hip_cuid_73296587dd904843
__hip_cuid_73296587dd904843:
	.byte	0                               ; 0x0
	.size	__hip_cuid_73296587dd904843, 1

	.ident	"AMD clang version 19.0.0git (https://github.com/RadeonOpenCompute/llvm-project roc-6.4.0 25133 c7fe45cf4b819c5991fe208aaa96edf142730f1d)"
	.section	".note.GNU-stack","",@progbits
	.addrsig
	.addrsig_sym __hip_cuid_73296587dd904843
	.amdgpu_metadata
---
amdhsa.kernels:
  - .args:
      - .actual_access:  read_only
        .address_space:  global
        .offset:         0
        .size:           8
        .value_kind:     global_buffer
      - .offset:         8
        .size:           8
        .value_kind:     by_value
      - .actual_access:  read_only
        .address_space:  global
        .offset:         16
        .size:           8
        .value_kind:     global_buffer
      - .actual_access:  read_only
        .address_space:  global
        .offset:         24
        .size:           8
        .value_kind:     global_buffer
      - .actual_access:  read_only
        .address_space:  global
        .offset:         32
        .size:           8
        .value_kind:     global_buffer
      - .offset:         40
        .size:           8
        .value_kind:     by_value
      - .actual_access:  read_only
        .address_space:  global
        .offset:         48
        .size:           8
        .value_kind:     global_buffer
      - .actual_access:  read_only
        .address_space:  global
        .offset:         56
        .size:           8
        .value_kind:     global_buffer
      - .offset:         64
        .size:           4
        .value_kind:     by_value
      - .actual_access:  read_only
        .address_space:  global
        .offset:         72
        .size:           8
        .value_kind:     global_buffer
      - .actual_access:  read_only
        .address_space:  global
        .offset:         80
        .size:           8
        .value_kind:     global_buffer
      - .actual_access:  read_only
        .address_space:  global
        .offset:         88
        .size:           8
        .value_kind:     global_buffer
      - .actual_access:  write_only
        .address_space:  global
        .offset:         96
        .size:           8
        .value_kind:     global_buffer
    .group_segment_fixed_size: 0
    .kernarg_segment_align: 8
    .kernarg_segment_size: 104
    .language:       OpenCL C
    .language_version:
      - 2
      - 0
    .max_flat_workgroup_size: 176
    .name:           fft_rtc_back_len1584_factors_4_2_2_11_3_3_wgs_176_tpt_176_halfLds_dp_op_CI_CI_unitstride_sbrr_dirReg
    .private_segment_fixed_size: 0
    .sgpr_count:     46
    .sgpr_spill_count: 0
    .symbol:         fft_rtc_back_len1584_factors_4_2_2_11_3_3_wgs_176_tpt_176_halfLds_dp_op_CI_CI_unitstride_sbrr_dirReg.kd
    .uniform_work_group_size: 1
    .uses_dynamic_stack: false
    .vgpr_count:     119
    .vgpr_spill_count: 0
    .wavefront_size: 64
amdhsa.target:   amdgcn-amd-amdhsa--gfx906
amdhsa.version:
  - 1
  - 2
...

	.end_amdgpu_metadata
